;; amdgpu-corpus repo=ROCm/rocFFT kind=compiled arch=gfx950 opt=O3
	.text
	.amdgcn_target "amdgcn-amd-amdhsa--gfx950"
	.amdhsa_code_object_version 6
	.protected	bluestein_single_back_len42_dim1_sp_op_CI_CI ; -- Begin function bluestein_single_back_len42_dim1_sp_op_CI_CI
	.globl	bluestein_single_back_len42_dim1_sp_op_CI_CI
	.p2align	8
	.type	bluestein_single_back_len42_dim1_sp_op_CI_CI,@function
bluestein_single_back_len42_dim1_sp_op_CI_CI: ; @bluestein_single_back_len42_dim1_sp_op_CI_CI
; %bb.0:
	s_load_dwordx4 s[8:11], s[0:1], 0x28
	v_mul_u32_u24_e32 v1, 0x2493, v0
	v_lshrrev_b32_e32 v2, 16, v1
	v_mad_u64_u32 v[20:21], s[2:3], s2, 36, v[2:3]
	v_mov_b32_e32 v21, 0
	s_waitcnt lgkmcnt(0)
	v_cmp_gt_u64_e32 vcc, s[8:9], v[20:21]
	s_and_saveexec_b64 s[2:3], vcc
	s_cbranch_execz .LBB0_15
; %bb.1:
	v_mul_lo_u16_e32 v1, 7, v2
	s_mov_b32 s2, 0x38e38e39
	v_sub_u16_e32 v36, v0, v1
	v_mul_hi_u32 v0, v20, s2
	s_load_dwordx2 s[8:9], s[0:1], 0x0
	s_load_dwordx2 s[12:13], s[0:1], 0x38
	v_lshrrev_b32_e32 v0, 3, v0
	v_mul_lo_u32 v0, v0, 36
	v_sub_u32_e32 v0, v20, v0
	v_mul_u32_u24_e32 v32, 42, v0
	v_cmp_gt_u16_e32 vcc, 6, v36
	v_lshlrev_b32_e32 v37, 3, v36
	v_lshlrev_b32_e32 v38, 3, v32
	v_or_b32_e32 v21, 24, v36
	s_and_saveexec_b64 s[2:3], vcc
	s_cbranch_execz .LBB0_3
; %bb.2:
	s_load_dwordx2 s[4:5], s[0:1], 0x18
	v_mov_b32_e32 v0, s10
	v_mov_b32_e32 v1, s11
	;; [unrolled: 1-line block ×3, first 2 shown]
	v_lshl_add_u32 v33, v36, 3, v38
	s_waitcnt lgkmcnt(0)
	s_load_dwordx4 s[4:7], s[4:5], 0x0
	v_add_u32_e32 v39, v38, v37
	s_waitcnt lgkmcnt(0)
	v_mad_u64_u32 v[2:3], s[10:11], s6, v20, 0
	v_mad_u64_u32 v[4:5], s[10:11], s4, v36, 0
	v_mov_b32_e32 v6, v3
	v_mov_b32_e32 v8, v5
	v_mad_u64_u32 v[6:7], s[6:7], s7, v20, v[6:7]
	v_mov_b32_e32 v3, v6
	v_mad_u64_u32 v[6:7], s[6:7], s5, v36, v[8:9]
	v_mad_u64_u32 v[8:9], s[6:7], s4, v21, 0
	v_mov_b32_e32 v5, v6
	v_lshl_add_u64 v[0:1], v[2:3], 3, v[0:1]
	v_mov_b32_e32 v10, v9
	v_lshl_add_u64 v[2:3], v[4:5], 3, v[0:1]
	v_mad_u64_u32 v[10:11], s[6:7], s5, v21, v[10:11]
	v_mad_u64_u32 v[6:7], s[6:7], s4, 48, v[2:3]
	s_mul_i32 s10, s5, 48
	v_mov_b32_e32 v9, v10
	v_lshl_add_u64 v[0:1], v[8:9], 3, v[0:1]
	v_add_u32_e32 v7, s10, v7
	global_load_dwordx2 v[4:5], v37, s[8:9]
	global_load_dwordx2 v[8:9], v[2:3], off
	global_load_dwordx2 v[10:11], v[0:1], off
	global_load_dwordx2 v[12:13], v37, s[8:9] offset:192
	v_mad_u64_u32 v[0:1], s[6:7], s4, 48, v[6:7]
	v_add_u32_e32 v1, s10, v1
	global_load_dwordx2 v[2:3], v[6:7], off
	global_load_dwordx2 v[14:15], v[0:1], off
	global_load_dwordx2 v[16:17], v37, s[8:9] offset:48
	v_mad_u64_u32 v[0:1], s[6:7], s4, 48, v[0:1]
	v_add_u32_e32 v1, s10, v1
	global_load_dwordx2 v[6:7], v37, s[8:9] offset:96
	global_load_dwordx2 v[18:19], v37, s[8:9] offset:144
	v_mad_u64_u32 v[22:23], s[6:7], s4, v22, v[0:1]
	s_mulk_i32 s5, 0x60
	global_load_dwordx2 v[0:1], v[0:1], off
	v_add_u32_e32 v23, s5, v23
	global_load_dwordx2 v[24:25], v[22:23], off
	global_load_dwordx2 v[26:27], v37, s[8:9] offset:240
	v_mad_u64_u32 v[22:23], s[4:5], s4, 48, v[22:23]
	v_add_u32_e32 v23, s10, v23
	global_load_dwordx2 v[28:29], v37, s[8:9] offset:288
	global_load_dwordx2 v[30:31], v[22:23], off
	s_waitcnt vmcnt(12)
	v_mul_f32_e32 v22, v9, v5
	v_mul_f32_e32 v5, v8, v5
	v_fmac_f32_e32 v22, v8, v4
	v_fma_f32 v23, v9, v4, -v5
	s_waitcnt vmcnt(10)
	v_mul_f32_e32 v34, v11, v13
	s_waitcnt vmcnt(7)
	v_mul_f32_e32 v4, v3, v17
	v_mul_f32_e32 v5, v2, v17
	v_fmac_f32_e32 v4, v2, v16
	v_fma_f32 v5, v3, v16, -v5
	s_waitcnt vmcnt(6)
	v_mul_f32_e32 v2, v15, v7
	v_mul_f32_e32 v3, v14, v7
	v_fmac_f32_e32 v2, v14, v6
	v_fma_f32 v3, v15, v6, -v3
	v_mul_f32_e32 v13, v10, v13
	ds_write_b64 v33, v[22:23]
	ds_write2_b64 v39, v[4:5], v[2:3] offset0:6 offset1:12
	s_waitcnt vmcnt(4)
	v_mul_f32_e32 v2, v1, v19
	v_mul_f32_e32 v3, v0, v19
	v_fmac_f32_e32 v34, v10, v12
	v_fma_f32 v35, v11, v12, -v13
	v_fmac_f32_e32 v2, v0, v18
	v_fma_f32 v3, v1, v18, -v3
	ds_write2_b64 v39, v[2:3], v[34:35] offset0:18 offset1:24
	s_waitcnt vmcnt(2)
	v_mul_f32_e32 v0, v25, v27
	v_mul_f32_e32 v1, v24, v27
	s_waitcnt vmcnt(0)
	v_mul_f32_e32 v2, v31, v29
	v_mul_f32_e32 v3, v30, v29
	v_fmac_f32_e32 v0, v24, v26
	v_fma_f32 v1, v25, v26, -v1
	v_fmac_f32_e32 v2, v30, v28
	v_fma_f32 v3, v31, v28, -v3
	ds_write2_b64 v39, v[0:1], v[2:3] offset0:30 offset1:36
.LBB0_3:
	s_or_b64 exec, exec, s[2:3]
	s_load_dwordx2 s[2:3], s[0:1], 0x20
	s_load_dwordx2 s[4:5], s[0:1], 0x8
	v_mov_b64_e32 v[2:3], 0
	v_mov_b64_e32 v[4:5], v[2:3]
	;; [unrolled: 1-line block ×4, first 2 shown]
	s_waitcnt lgkmcnt(0)
	s_barrier
	s_waitcnt lgkmcnt(0)
                                        ; implicit-def: $vgpr19
                                        ; implicit-def: $vgpr24
                                        ; implicit-def: $vgpr23
	s_and_saveexec_b64 s[0:1], vcc
	s_cbranch_execz .LBB0_5
; %bb.4:
	v_lshl_add_u32 v0, v32, 3, v37
	ds_read2_b64 v[4:7], v0 offset0:12 offset1:18
	ds_read2_b64 v[8:11], v0 offset0:24 offset1:30
	ds_read_b64 v[12:13], v0 offset:288
	ds_read2_b64 v[0:3], v0 offset1:6
	s_waitcnt lgkmcnt(3)
	v_mov_b32_e32 v19, v7
	s_waitcnt lgkmcnt(2)
	v_mov_b32_e32 v18, v10
	v_mov_b32_e32 v24, v11
	s_waitcnt lgkmcnt(1)
	v_mov_b32_e32 v23, v12
	v_mov_b32_e32 v7, v13
.LBB0_5:
	s_or_b64 exec, exec, s[0:1]
	v_mov_b32_e32 v26, v8
	s_waitcnt lgkmcnt(0)
	v_mov_b32_e32 v27, v3
	v_mov_b32_e32 v28, v4
	;; [unrolled: 1-line block ×3, first 2 shown]
	v_add_f32_e32 v14, v23, v2
	v_sub_f32_e32 v10, v3, v7
	v_add_f32_e32 v17, v24, v5
	v_sub_f32_e32 v13, v4, v18
	v_pk_add_f32 v[26:27], v[6:7], v[26:27]
	v_pk_add_f32 v[28:29], v[18:19], v[28:29]
	v_mov_b32_e32 v4, v5
	v_mov_b32_e32 v5, v8
	;; [unrolled: 1-line block ×6, first 2 shown]
	v_pk_add_f32 v[4:5], v[4:5], v[24:25] neg_lo:[0,1] neg_hi:[0,1]
	v_pk_add_f32 v[2:3], v[6:7], v[22:23] neg_lo:[0,1] neg_hi:[0,1]
	v_mov_b32_e32 v15, v27
	v_mov_b32_e32 v16, v28
	v_pk_add_f32 v[6:7], v[26:27], v[28:29] neg_lo:[0,1] neg_hi:[0,1]
	v_mov_b32_e32 v28, v14
	v_mov_b32_e32 v27, v17
	s_mov_b32 s6, 0x3d64c772
	v_pk_add_f32 v[8:9], v[14:15], v[16:17]
	v_pk_add_f32 v[24:25], v[28:29], v[26:27] neg_lo:[0,1] neg_hi:[0,1]
	v_mov_b32_e32 v12, v2
	v_mov_b32_e32 v11, v5
	;; [unrolled: 1-line block ×3, first 2 shown]
	s_mov_b32 s7, 0x3f4a47b2
	s_mov_b32 s16, 0x3eae86e6
	v_pk_add_f32 v[22:23], v[12:13], v[4:5]
	v_pk_add_f32 v[30:31], v[10:11], v[12:13] neg_lo:[0,1] neg_hi:[0,1]
	v_pk_add_f32 v[28:29], v[8:9], v[26:27]
	v_mov_b32_e32 v11, v3
	s_mov_b32 s10, s7
	s_mov_b32 s11, s6
	;; [unrolled: 1-line block ×3, first 2 shown]
	v_pk_add_f32 v[18:19], v[2:3], v[4:5] neg_lo:[0,1] neg_hi:[0,1]
	v_pk_add_f32 v[26:27], v[10:11], v[22:23]
	v_pk_add_f32 v[22:23], v[28:29], v[0:1]
	s_mov_b32 s0, 0xbf955555
	v_pk_mul_f32 v[0:1], v[24:25], s[10:11]
	v_pk_mul_f32 v[8:9], v[30:31], s[16:17]
	s_mov_b32 s14, s17
	s_mov_b32 s15, s16
	;; [unrolled: 1-line block ×3, first 2 shown]
	v_pk_fma_f32 v[2:3], v[28:29], s[0:1], v[22:23] op_sel_hi:[1,0,1]
	v_pk_fma_f32 v[24:25], v[6:7], s[6:7], v[0:1]
	v_pk_fma_f32 v[28:29], v[18:19], s[14:15], v[8:9]
	v_pk_add_f32 v[24:25], v[24:25], v[2:3]
	v_pk_fma_f32 v[30:31], v[26:27], s[10:11], v[28:29] op_sel_hi:[1,0,1]
	v_mul_lo_u16_e32 v41, 7, v36
	v_pk_add_f32 v[28:29], v[24:25], v[30:31] neg_lo:[0,1] neg_hi:[0,1]
	v_pk_add_f32 v[30:31], v[24:25], v[30:31]
	v_mov_b32_e32 v24, v28
	v_mov_b32_e32 v25, v31
	s_barrier
	s_and_saveexec_b64 s[0:1], vcc
	s_cbranch_execz .LBB0_7
; %bb.6:
	v_pk_mul_f32 v[6:7], v[6:7], s[6:7]
	v_pk_mul_f32 v[18:19], v[18:19], s[14:15]
	v_add_lshl_u32 v28, v32, v41, 3
	v_mov_b32_e32 v31, v29
	v_mov_b32_e32 v5, v13
	v_pk_mul_f32 v[26:27], v[26:27], s[10:11] op_sel_hi:[1,0]
	ds_write2_b64 v28, v[22:23], v[30:31] offset1:1
	v_mov_b32_e32 v22, v0
	v_mov_b32_e32 v23, v7
	v_pk_add_f32 v[14:15], v[16:17], v[14:15] neg_lo:[0,1] neg_hi:[0,1]
	s_mov_b32 s6, 0x3f3bfb3b
	v_pk_add_f32 v[4:5], v[4:5], v[10:11] neg_lo:[0,1] neg_hi:[0,1]
	s_mov_b32 s10, 0x3f5ff5aa
	v_mov_b32_e32 v10, v8
	v_mov_b32_e32 v11, v19
	;; [unrolled: 1-line block ×4, first 2 shown]
	v_pk_fma_f32 v[16:17], v[14:15], s[6:7], v[22:23] op_sel_hi:[1,0,1] neg_lo:[1,0,1] neg_hi:[1,0,1]
	v_pk_fma_f32 v[10:11], v[4:5], s[10:11], v[10:11] op_sel_hi:[1,0,1] neg_lo:[1,0,1] neg_hi:[1,0,1]
	;; [unrolled: 1-line block ×4, first 2 shown]
	v_pk_add_f32 v[16:17], v[16:17], v[2:3]
	v_pk_add_f32 v[10:11], v[10:11], v[26:27]
	v_pk_add_f32 v[4:5], v[4:5], v[26:27]
	v_pk_add_f32 v[0:1], v[0:1], v[2:3]
	v_pk_add_f32 v[12:13], v[16:17], v[10:11]
	v_pk_add_f32 v[10:11], v[16:17], v[10:11] neg_lo:[0,1] neg_hi:[0,1]
	v_pk_add_f32 v[2:3], v[0:1], v[4:5] neg_lo:[0,1] neg_hi:[0,1]
	v_pk_add_f32 v[0:1], v[0:1], v[4:5]
	v_mov_b32_e32 v4, v12
	v_mov_b32_e32 v5, v11
	;; [unrolled: 1-line block ×6, first 2 shown]
	ds_write2_b64 v28, v[4:5], v[6:7] offset0:2 offset1:3
	ds_write2_b64 v28, v[0:1], v[10:11] offset0:4 offset1:5
	ds_write_b64 v28, v[24:25] offset:48
.LBB0_7:
	s_or_b64 exec, exec, s[0:1]
	v_mad_u64_u32 v[8:9], s[4:5], v36, 40, s[4:5]
	s_load_dwordx4 s[0:3], s[2:3], 0x0
	s_waitcnt lgkmcnt(0)
	s_barrier
	global_load_dwordx4 v[4:7], v[8:9], off
	global_load_dwordx4 v[0:3], v[8:9], off offset:16
	global_load_dwordx2 v[22:23], v[8:9], off offset:32
	v_add_lshl_u32 v40, v32, v36, 3
	ds_read2_b64 v[8:11], v40 offset1:7
	ds_read2_b64 v[12:15], v40 offset0:14 offset1:21
	ds_read2_b64 v[16:19], v40 offset0:28 offset1:35
	s_mov_b32 s4, 0x3f5db3d7
	s_mov_b32 s6, 0.5
	s_mov_b32 s7, s4
	v_lshl_add_u32 v39, v36, 3, v38
	s_waitcnt vmcnt(2) lgkmcnt(2)
	v_pk_mul_f32 v[26:27], v[10:11], v[4:5] op_sel:[0,1]
	v_mov_b32_e32 v28, v7
	s_waitcnt vmcnt(1) lgkmcnt(1)
	v_pk_mul_f32 v[30:31], v[14:15], v[0:1] op_sel:[0,1]
	v_mov_b32_e32 v32, v3
	s_waitcnt vmcnt(0) lgkmcnt(0)
	v_pk_mul_f32 v[34:35], v[18:19], v[22:23] op_sel:[0,1]
	v_pk_fma_f32 v[42:43], v[10:11], v[4:5], v[26:27] op_sel:[0,0,1] op_sel_hi:[1,1,0] neg_lo:[0,0,1] neg_hi:[0,0,1]
	v_pk_fma_f32 v[10:11], v[10:11], v[4:5], v[26:27] op_sel:[0,0,1] op_sel_hi:[1,0,0]
	v_pk_mul_f32 v[26:27], v[12:13], v[28:29] op_sel_hi:[1,0]
	v_pk_fma_f32 v[28:29], v[14:15], v[0:1], v[30:31] op_sel:[0,0,1] op_sel_hi:[1,1,0] neg_lo:[0,0,1] neg_hi:[0,0,1]
	v_pk_fma_f32 v[14:15], v[14:15], v[0:1], v[30:31] op_sel:[0,0,1] op_sel_hi:[1,0,0]
	v_pk_mul_f32 v[30:31], v[16:17], v[32:33] op_sel_hi:[1,0]
	v_pk_fma_f32 v[32:33], v[18:19], v[22:23], v[34:35] op_sel:[0,0,1] op_sel_hi:[1,1,0] neg_lo:[0,0,1] neg_hi:[0,0,1]
	v_pk_fma_f32 v[18:19], v[18:19], v[22:23], v[34:35] op_sel:[0,0,1] op_sel_hi:[1,0,0]
	v_mov_b32_e32 v43, v11
	v_pk_fma_f32 v[10:11], v[12:13], v[6:7], v[26:27] op_sel:[0,0,1] op_sel_hi:[1,1,0] neg_lo:[0,0,1] neg_hi:[0,0,1]
	v_pk_fma_f32 v[12:13], v[12:13], v[6:7], v[26:27] op_sel:[0,0,1] op_sel_hi:[1,0,0]
	v_mov_b32_e32 v29, v15
	v_pk_fma_f32 v[14:15], v[16:17], v[2:3], v[30:31] op_sel:[0,0,1] op_sel_hi:[1,1,0] neg_lo:[0,0,1] neg_hi:[0,0,1]
	v_pk_fma_f32 v[16:17], v[16:17], v[2:3], v[30:31] op_sel:[0,0,1] op_sel_hi:[1,0,0]
	v_mov_b32_e32 v33, v19
	v_mov_b32_e32 v11, v13
	v_mov_b32_e32 v15, v17
	v_pk_add_f32 v[12:13], v[28:29], v[32:33]
	v_pk_add_f32 v[16:17], v[28:29], v[32:33] neg_lo:[0,1] neg_hi:[0,1]
	v_pk_add_f32 v[18:19], v[42:43], v[28:29]
	v_pk_add_f32 v[26:27], v[8:9], v[10:11]
	;; [unrolled: 1-line block ×3, first 2 shown]
	v_pk_add_f32 v[10:11], v[10:11], v[14:15] neg_lo:[0,1] neg_hi:[0,1]
	v_pk_fma_f32 v[12:13], v[12:13], 0.5, v[42:43] op_sel_hi:[1,0,1] neg_lo:[1,0,0] neg_hi:[1,0,0]
	v_pk_add_f32 v[14:15], v[26:27], v[14:15]
	v_pk_fma_f32 v[8:9], v[28:29], 0.5, v[8:9] op_sel_hi:[1,0,1] neg_lo:[1,0,0] neg_hi:[1,0,0]
	v_pk_mul_f32 v[10:11], v[10:11], s[4:5] op_sel_hi:[1,0]
	v_pk_fma_f32 v[26:27], v[16:17], s[4:5], v[12:13] op_sel:[0,0,1] op_sel_hi:[1,0,0]
	v_pk_fma_f32 v[12:13], v[16:17], s[4:5], v[12:13] op_sel:[0,0,1] op_sel_hi:[1,0,0] neg_lo:[1,0,0] neg_hi:[1,0,0]
	v_pk_add_f32 v[18:19], v[18:19], v[32:33]
	s_mov_b32 s5, s6
	v_pk_add_f32 v[16:17], v[8:9], v[10:11] op_sel:[0,1] op_sel_hi:[1,0]
	v_pk_add_f32 v[28:29], v[8:9], v[10:11] op_sel:[0,1] op_sel_hi:[1,0] neg_lo:[0,1] neg_hi:[0,1]
	v_mov_b32_e32 v10, v26
	v_mov_b32_e32 v11, v13
	v_pk_mul_f32 v[26:27], v[26:27], s[6:7] op_sel:[1,0]
	v_pk_add_f32 v[8:9], v[14:15], v[18:19]
	v_pk_add_f32 v[14:15], v[14:15], v[18:19] neg_lo:[0,1] neg_hi:[0,1]
	v_mov_b32_e32 v18, v16
	v_mov_b32_e32 v19, v29
	;; [unrolled: 1-line block ×3, first 2 shown]
	v_pk_fma_f32 v[16:17], v[12:13], s[4:5], v[26:27]
	v_pk_fma_f32 v[12:13], v[12:13], s[4:5], v[26:27] op_sel_hi:[0,1,1] neg_lo:[0,0,1] neg_hi:[0,0,1]
	s_mov_b32 s5, 0xbf5db3d7
	v_pk_mul_f32 v[26:27], v[10:11], 0.5 op_sel_hi:[1,0]
	v_mov_b32_e32 v17, v13
	v_pk_fma_f32 v[26:27], v[10:11], s[4:5], v[26:27] op_sel:[0,0,1] op_sel_hi:[1,1,0] neg_lo:[0,0,1] neg_hi:[0,0,1]
	v_pk_add_f32 v[10:11], v[18:19], v[16:17]
	v_pk_add_f32 v[12:13], v[28:29], v[26:27]
	v_pk_add_f32 v[16:17], v[18:19], v[16:17] neg_lo:[0,1] neg_hi:[0,1]
	v_pk_add_f32 v[18:19], v[28:29], v[26:27] neg_lo:[0,1] neg_hi:[0,1]
	ds_write2_b64 v39, v[8:9], v[10:11] offset1:7
	ds_write2_b64 v39, v[12:13], v[14:15] offset0:14 offset1:21
	ds_write2_b64 v39, v[16:17], v[18:19] offset0:28 offset1:35
	s_waitcnt lgkmcnt(0)
	s_barrier
	s_and_saveexec_b64 s[4:5], vcc
	s_cbranch_execz .LBB0_9
; %bb.8:
	global_load_dwordx2 v[34:35], v37, s[8:9] offset:336
	s_add_u32 s6, s8, 0x150
	s_addc_u32 s7, s9, 0
	global_load_dwordx2 v[46:47], v37, s[6:7] offset:48
	global_load_dwordx2 v[48:49], v37, s[6:7] offset:96
	;; [unrolled: 1-line block ×6, first 2 shown]
	ds_read2_b64 v[26:29], v39 offset1:6
	ds_read2_b64 v[30:33], v39 offset0:12 offset1:18
	ds_read2_b64 v[42:45], v39 offset0:24 offset1:30
	ds_read_b64 v[58:59], v39 offset:288
	s_waitcnt vmcnt(3) lgkmcnt(2)
	v_mul_f32_e32 v62, v33, v51
	v_mul_f32_e32 v60, v27, v35
	v_mul_f32_e32 v61, v26, v35
	v_fma_f32 v60, v26, v34, -v60
	v_fmac_f32_e32 v61, v27, v34
	v_mul_f32_e32 v26, v29, v47
	v_mul_f32_e32 v27, v28, v47
	;; [unrolled: 1-line block ×5, first 2 shown]
	s_waitcnt vmcnt(2) lgkmcnt(1)
	v_mul_f32_e32 v63, v43, v53
	v_mul_f32_e32 v49, v42, v53
	s_waitcnt vmcnt(1)
	v_mul_f32_e32 v64, v45, v55
	v_mul_f32_e32 v51, v44, v55
	s_waitcnt vmcnt(0) lgkmcnt(0)
	v_mul_f32_e32 v55, v59, v57
	v_mul_f32_e32 v53, v58, v57
	v_fma_f32 v26, v28, v46, -v26
	v_fmac_f32_e32 v27, v29, v46
	v_fma_f32 v34, v30, v48, -v34
	v_fmac_f32_e32 v35, v31, v48
	;; [unrolled: 2-line block ×6, first 2 shown]
	ds_write2_b64 v39, v[60:61], v[26:27] offset1:6
	ds_write2_b64 v39, v[34:35], v[46:47] offset0:12 offset1:18
	ds_write2_b64 v39, v[48:49], v[50:51] offset0:24 offset1:30
	ds_write_b64 v39, v[52:53] offset:288
.LBB0_9:
	s_or_b64 exec, exec, s[4:5]
	s_waitcnt lgkmcnt(0)
	s_barrier
	s_and_saveexec_b64 s[4:5], vcc
	s_cbranch_execz .LBB0_11
; %bb.10:
	ds_read2_b64 v[8:11], v39 offset1:6
	ds_read2_b64 v[12:15], v39 offset0:12 offset1:18
	ds_read2_b64 v[16:19], v39 offset0:24 offset1:30
	ds_read_b64 v[24:25], v39 offset:288
.LBB0_11:
	s_or_b64 exec, exec, s[4:5]
	v_mov_b32_e32 v34, v4
	v_mov_b32_e32 v35, v4
	;; [unrolled: 1-line block ×15, first 2 shown]
	s_waitcnt lgkmcnt(0)
	s_barrier
	s_and_saveexec_b64 s[4:5], vcc
	s_cbranch_execz .LBB0_13
; %bb.12:
	v_pk_add_f32 v[42:43], v[24:25], v[10:11]
	v_pk_add_f32 v[46:47], v[18:19], v[12:13]
	;; [unrolled: 1-line block ×4, first 2 shown]
	s_mov_b32 s6, 0x3f4a47b2
	v_pk_add_f32 v[48:49], v[44:45], v[48:49]
	v_mov_b32_e32 v52, v44
	s_mov_b32 s7, 0x3d64c772
	v_mov_b32_e32 v54, v44
	v_mov_b32_e32 v55, v43
	v_mov_b32_e32 v44, v46
	v_mov_b32_e32 v50, v42
	v_mov_b32_e32 v51, v45
	v_mov_b32_e32 v53, v47
	v_pk_add_f32 v[44:45], v[54:55], v[44:45] neg_lo:[0,1] neg_hi:[0,1]
	s_mov_b32 s10, s7
	s_mov_b32 s11, s6
	v_pk_add_f32 v[50:51], v[50:51], v[52:53] neg_lo:[0,1] neg_hi:[0,1]
	v_pk_mul_f32 v[44:45], v[44:45], s[10:11]
	v_pk_mul_f32 v[52:53], v[50:51], s[6:7]
	v_pk_fma_f32 v[50:51], v[50:51], s[6:7], v[44:45]
	v_pk_add_f32 v[10:11], v[10:11], v[24:25] neg_lo:[0,1] neg_hi:[0,1]
	v_pk_add_f32 v[14:15], v[16:17], v[14:15] neg_lo:[0,1] neg_hi:[0,1]
	;; [unrolled: 1-line block ×3, first 2 shown]
	s_mov_b32 s6, 0xbeae86e6
	s_mov_b32 s7, 0x3f08b237
	v_mov_b32_e32 v24, v15
	v_mov_b32_e32 v25, v10
	;; [unrolled: 1-line block ×8, first 2 shown]
	v_pk_add_f32 v[24:25], v[24:25], v[54:55] neg_lo:[0,1] neg_hi:[0,1]
	s_mov_b32 s10, s7
	s_mov_b32 s11, s6
	v_pk_add_f32 v[16:17], v[16:17], v[18:19] neg_lo:[0,1] neg_hi:[0,1]
	v_pk_mul_f32 v[24:25], v[24:25], s[10:11]
	v_pk_add_f32 v[14:15], v[14:15], v[12:13]
	v_pk_add_f32 v[8:9], v[8:9], v[48:49]
	v_pk_mul_f32 v[18:19], v[16:17], s[6:7]
	v_pk_fma_f32 v[16:17], v[16:17], s[6:7], v[24:25]
	v_pk_add_f32 v[14:15], v[14:15], v[10:11]
	s_mov_b32 s6, 0xbee1c552
	s_mov_b32 s10, 0xbf955555
	v_pk_mul_f32 v[54:55], v[14:15], s[6:7] op_sel_hi:[1,0]
	v_pk_fma_f32 v[48:49], v[48:49], s[10:11], v[8:9] op_sel_hi:[1,0,1]
	v_pk_add_f32 v[16:17], v[54:55], v[16:17] op_sel:[1,0] op_sel_hi:[0,1]
	v_pk_add_f32 v[50:51], v[50:51], v[48:49]
	v_lshl_add_u32 v38, v41, 3, v38
	v_pk_add_f32 v[54:55], v[50:51], v[16:17]
	v_pk_add_f32 v[16:17], v[50:51], v[16:17] neg_lo:[0,1] neg_hi:[0,1]
	v_mov_b32_e32 v50, v54
	v_mov_b32_e32 v51, v17
	ds_write2_b64 v38, v[8:9], v[50:51] offset1:1
	v_pk_add_f32 v[8:9], v[46:47], v[42:43] neg_lo:[0,1] neg_hi:[0,1]
	s_mov_b32 s10, 0x3f3bfb3b
	v_mov_b32_e32 v42, v52
	v_mov_b32_e32 v43, v45
	v_pk_add_f32 v[10:11], v[12:13], v[10:11] neg_lo:[0,1] neg_hi:[0,1]
	s_mov_b32 s14, 0xbf5ff5aa
	v_mov_b32_e32 v12, v25
	v_mov_b32_e32 v13, v18
	;; [unrolled: 1-line block ×5, first 2 shown]
	v_pk_fma_f32 v[42:43], v[8:9], s[10:11], v[42:43] op_sel_hi:[1,0,1] neg_lo:[1,0,1] neg_hi:[1,0,1]
	v_pk_fma_f32 v[12:13], v[10:11], s[14:15], v[12:13] op_sel_hi:[1,0,1] neg_lo:[1,0,1] neg_hi:[1,0,1]
	;; [unrolled: 1-line block ×4, first 2 shown]
	v_pk_fma_f32 v[12:13], v[14:15], s[6:7], v[12:13] op_sel_hi:[1,0,1]
	v_pk_add_f32 v[42:43], v[42:43], v[48:49]
	v_pk_fma_f32 v[10:11], v[14:15], s[6:7], v[10:11] op_sel_hi:[1,0,1]
	v_pk_add_f32 v[8:9], v[8:9], v[48:49]
	v_pk_add_f32 v[46:47], v[42:43], v[12:13] op_sel:[0,1] op_sel_hi:[1,0]
	v_pk_add_f32 v[12:13], v[42:43], v[12:13] op_sel:[0,1] op_sel_hi:[1,0] neg_lo:[0,1] neg_hi:[0,1]
	v_pk_add_f32 v[14:15], v[8:9], v[10:11] op_sel:[0,1] op_sel_hi:[1,0] neg_lo:[0,1] neg_hi:[0,1]
	v_pk_add_f32 v[8:9], v[8:9], v[10:11] op_sel:[0,1] op_sel_hi:[1,0]
	v_mov_b32_e32 v10, v46
	v_mov_b32_e32 v11, v13
	;; [unrolled: 1-line block ×7, first 2 shown]
	ds_write2_b64 v38, v[10:11], v[18:19] offset0:2 offset1:3
	ds_write2_b64 v38, v[8:9], v[12:13] offset0:4 offset1:5
	ds_write_b64 v38, v[16:17] offset:48
.LBB0_13:
	s_or_b64 exec, exec, s[4:5]
	s_waitcnt lgkmcnt(0)
	s_barrier
	ds_read2_b64 v[8:11], v40 offset1:7
	ds_read2_b64 v[12:15], v40 offset0:14 offset1:21
	ds_read2_b64 v[16:19], v40 offset0:28 offset1:35
	s_mov_b32 s6, 0x3f5db3d7
	s_mov_b32 s10, 0.5
	s_waitcnt lgkmcnt(2)
	v_pk_mul_f32 v[4:5], v[4:5], v[10:11]
	s_waitcnt lgkmcnt(1)
	v_pk_mul_f32 v[6:7], v[6:7], v[12:13]
	v_pk_fma_f32 v[24:25], v[34:35], v[10:11], v[4:5] op_sel:[0,0,1] op_sel_hi:[1,1,0]
	v_pk_fma_f32 v[4:5], v[34:35], v[10:11], v[4:5] op_sel:[0,0,1] op_sel_hi:[1,1,0] neg_lo:[0,0,1] neg_hi:[0,0,1]
	v_pk_fma_f32 v[10:11], v[32:33], v[12:13], v[6:7] op_sel:[0,0,1] op_sel_hi:[1,1,0]
	v_pk_fma_f32 v[6:7], v[32:33], v[12:13], v[6:7] op_sel:[0,0,1] op_sel_hi:[1,1,0] neg_lo:[0,0,1] neg_hi:[0,0,1]
	v_pk_mul_f32 v[0:1], v[0:1], v[14:15]
	v_mov_b32_e32 v11, v7
	v_pk_fma_f32 v[6:7], v[30:31], v[14:15], v[0:1] op_sel:[0,0,1] op_sel_hi:[1,1,0]
	v_pk_fma_f32 v[0:1], v[30:31], v[14:15], v[0:1] op_sel:[0,0,1] op_sel_hi:[1,1,0] neg_lo:[0,0,1] neg_hi:[0,0,1]
	v_mov_b32_e32 v25, v5
	v_mov_b32_e32 v7, v1
	s_waitcnt lgkmcnt(0)
	v_pk_mul_f32 v[0:1], v[2:3], v[16:17]
	v_mov_b32_e32 v4, v24
	v_pk_fma_f32 v[2:3], v[28:29], v[16:17], v[0:1] op_sel:[0,0,1] op_sel_hi:[1,1,0]
	v_pk_fma_f32 v[0:1], v[28:29], v[16:17], v[0:1] op_sel:[0,0,1] op_sel_hi:[1,1,0] neg_lo:[0,0,1] neg_hi:[0,0,1]
	s_mov_b32 s11, s6
	v_mov_b32_e32 v3, v1
	v_pk_mul_f32 v[0:1], v[22:23], v[18:19]
	s_mov_b32 s4, -0.5
	v_pk_fma_f32 v[12:13], v[26:27], v[18:19], v[0:1] op_sel:[0,0,1] op_sel_hi:[1,1,0]
	v_pk_fma_f32 v[0:1], v[26:27], v[18:19], v[0:1] op_sel:[0,0,1] op_sel_hi:[1,1,0] neg_lo:[0,0,1] neg_hi:[0,0,1]
	v_pk_add_f32 v[18:19], v[10:11], v[2:3]
	v_mov_b32_e32 v13, v1
	v_pk_add_f32 v[0:1], v[8:9], v[10:11]
	v_pk_add_f32 v[14:15], v[6:7], v[12:13]
	v_pk_add_f32 v[0:1], v[0:1], v[2:3]
	v_pk_add_f32 v[16:17], v[6:7], v[12:13] neg_lo:[0,1] neg_hi:[0,1]
	v_pk_add_f32 v[6:7], v[24:25], v[6:7]
	v_fmac_f32_e32 v5, -0.5, v15
	v_pk_add_f32 v[2:3], v[10:11], v[2:3] neg_lo:[0,1] neg_hi:[0,1]
	v_fmac_f32_e32 v4, -0.5, v14
	v_pk_add_f32 v[6:7], v[6:7], v[12:13]
	v_fmamk_f32 v12, v16, 0x3f5db3d7, v5
	v_pk_mul_f32 v[2:3], v[2:3], s[6:7] op_sel_hi:[1,0]
	s_mov_b32 s7, s10
	v_fmamk_f32 v14, v17, 0xbf5db3d7, v4
	v_pk_fma_f32 v[8:9], -0.5, v[18:19], v[8:9] op_sel_hi:[0,1,1]
	v_pk_mul_f32 v[12:13], v[12:13], s[6:7] op_sel_hi:[0,1]
	v_pk_add_f32 v[10:11], v[8:9], v[2:3] op_sel:[0,1] op_sel_hi:[1,0] neg_lo:[0,1] neg_hi:[0,1]
	v_pk_add_f32 v[2:3], v[8:9], v[2:3] op_sel:[0,1] op_sel_hi:[1,0]
	v_pk_fma_f32 v[18:19], v[14:15], s[10:11], v[12:13] neg_lo:[0,0,1] neg_hi:[0,0,1]
	v_pk_fma_f32 v[12:13], v[14:15], s[10:11], v[12:13] op_sel_hi:[0,1,1]
	v_fmac_f32_e32 v5, 0xbf5db3d7, v16
	v_mov_b32_e32 v8, v10
	v_mov_b32_e32 v9, v3
	;; [unrolled: 1-line block ×3, first 2 shown]
	v_fmac_f32_e32 v4, 0x3f5db3d7, v17
	v_pk_add_f32 v[16:17], v[0:1], v[6:7]
	v_pk_add_f32 v[12:13], v[8:9], v[18:19]
	v_mov_b32_e32 v10, v5
	ds_write2_b64 v39, v[16:17], v[12:13] offset1:7
	s_mov_b32 s5, s6
	v_pk_mul_f32 v[12:13], v[10:11], s[6:7] op_sel_hi:[0,1]
	v_pk_fma_f32 v[4:5], v[4:5], s[4:5], v[12:13] op_sel_hi:[0,1,1] neg_lo:[0,0,1] neg_hi:[0,0,1]
	v_mov_b32_e32 v3, v11
	v_pk_add_f32 v[10:11], v[2:3], v[4:5]
	v_pk_add_f32 v[0:1], v[0:1], v[6:7] neg_lo:[0,1] neg_hi:[0,1]
	ds_write2_b64 v39, v[10:11], v[0:1] offset0:14 offset1:21
	v_pk_add_f32 v[0:1], v[8:9], v[18:19] neg_lo:[0,1] neg_hi:[0,1]
	v_pk_add_f32 v[2:3], v[2:3], v[4:5] neg_lo:[0,1] neg_hi:[0,1]
	ds_write2_b64 v39, v[0:1], v[2:3] offset0:28 offset1:35
	s_waitcnt lgkmcnt(0)
	s_barrier
	s_and_b64 exec, exec, vcc
	s_cbranch_execz .LBB0_15
; %bb.14:
	global_load_dwordx2 v[8:9], v37, s[8:9]
	global_load_dwordx2 v[10:11], v37, s[8:9] offset:48
	global_load_dwordx2 v[12:13], v37, s[8:9] offset:96
	;; [unrolled: 1-line block ×4, first 2 shown]
	ds_read_b64 v[24:25], v39
	ds_read2_b64 v[0:3], v39 offset0:6 offset1:12
	ds_read2_b64 v[4:7], v39 offset0:18 offset1:24
	global_load_dwordx2 v[28:29], v37, s[8:9] offset:240
	global_load_dwordx2 v[30:31], v37, s[8:9] offset:288
	v_mad_u64_u32 v[22:23], s[4:5], s2, v20, 0
	v_mad_u64_u32 v[26:27], s[6:7], s0, v36, 0
	v_mov_b32_e32 v32, v23
	v_mov_b32_e32 v34, v27
	v_mad_u64_u32 v[32:33], s[2:3], s3, v20, v[32:33]
	v_mov_b32_e32 v18, s12
	v_mov_b32_e32 v19, s13
	;; [unrolled: 3-line block ×3, first 2 shown]
	v_lshl_add_u64 v[18:19], v[22:23], 3, v[18:19]
	v_lshl_add_u64 v[22:23], v[26:27], 3, v[18:19]
	s_mul_i32 s6, s1, 48
	v_mad_u64_u32 v[26:27], s[2:3], s0, 48, v[22:23]
	s_mov_b32 s4, 0x18618618
	v_add_u32_e32 v27, s6, v27
	s_mov_b32 s5, 0x3f986186
	v_mad_u64_u32 v[32:33], s[2:3], s0, 48, v[26:27]
	v_add_u32_e32 v33, s6, v33
	v_mad_u64_u32 v[34:35], s[2:3], s0, 48, v[32:33]
	v_add_u32_e32 v35, s6, v35
	s_waitcnt vmcnt(6) lgkmcnt(2)
	v_mul_f32_e32 v20, v25, v9
	v_mul_f32_e32 v9, v24, v9
	s_waitcnt vmcnt(5) lgkmcnt(1)
	v_mul_f32_e32 v36, v1, v11
	v_mul_f32_e32 v11, v0, v11
	s_waitcnt vmcnt(4)
	v_mul_f32_e32 v37, v3, v13
	v_mul_f32_e32 v13, v2, v13
	s_waitcnt vmcnt(3) lgkmcnt(0)
	v_mul_f32_e32 v38, v5, v15
	v_mul_f32_e32 v15, v4, v15
	v_fmac_f32_e32 v20, v24, v8
	v_fma_f32 v8, v8, v25, -v9
	v_fmac_f32_e32 v36, v0, v10
	v_fma_f32 v9, v10, v1, -v11
	;; [unrolled: 2-line block ×4, first 2 shown]
	v_cvt_f64_f32_e32 v[0:1], v20
	v_cvt_f64_f32_e32 v[2:3], v8
	;; [unrolled: 1-line block ×8, first 2 shown]
	v_mul_f64 v[0:1], v[0:1], s[4:5]
	v_mul_f64 v[2:3], v[2:3], s[4:5]
	;; [unrolled: 1-line block ×8, first 2 shown]
	v_cvt_f32_f64_e32 v0, v[0:1]
	v_cvt_f32_f64_e32 v1, v[2:3]
	;; [unrolled: 1-line block ×8, first 2 shown]
	global_store_dwordx2 v[22:23], v[0:1], off
	global_store_dwordx2 v[26:27], v[2:3], off
	;; [unrolled: 1-line block ×4, first 2 shown]
	s_waitcnt vmcnt(6)
	v_mul_f32_e32 v0, v6, v17
	v_fma_f32 v0, v16, v7, -v0
	v_cvt_f64_f32_e32 v[0:1], v0
	v_mul_f32_e32 v40, v7, v17
	v_mul_f64 v[0:1], v[0:1], s[4:5]
	v_fmac_f32_e32 v40, v6, v16
	v_cvt_f32_f64_e32 v5, v[0:1]
	v_mad_u64_u32 v[6:7], s[2:3], s0, v21, 0
	ds_read2_b64 v[0:3], v39 offset0:30 offset1:36
	v_mov_b32_e32 v8, v7
	v_cvt_f64_f32_e32 v[36:37], v40
	v_mad_u64_u32 v[8:9], s[2:3], s1, v21, v[8:9]
	v_mul_f64 v[36:37], v[36:37], s[4:5]
	v_mov_b32_e32 v7, v8
	v_cvt_f32_f64_e32 v4, v[36:37]
	v_lshl_add_u64 v[6:7], v[6:7], 3, v[18:19]
	global_store_dwordx2 v[6:7], v[4:5], off
	s_waitcnt vmcnt(6) lgkmcnt(0)
	v_mul_f32_e32 v4, v1, v29
	v_fmac_f32_e32 v4, v0, v28
	v_mul_f32_e32 v0, v0, v29
	v_fma_f32 v0, v28, v1, -v0
	v_cvt_f64_f32_e32 v[4:5], v4
	v_cvt_f64_f32_e32 v[0:1], v0
	v_mul_f64 v[4:5], v[4:5], s[4:5]
	v_mul_f64 v[0:1], v[0:1], s[4:5]
	v_cvt_f32_f64_e32 v4, v[4:5]
	v_cvt_f32_f64_e32 v5, v[0:1]
	v_mov_b32_e32 v0, 0x60
	v_mad_u64_u32 v[0:1], s[2:3], s0, v0, v[34:35]
	s_mulk_i32 s1, 0x60
	v_add_u32_e32 v1, s1, v1
	global_store_dwordx2 v[0:1], v[4:5], off
	s_waitcnt vmcnt(6)
	v_mul_f32_e32 v4, v3, v31
	v_fmac_f32_e32 v4, v2, v30
	v_mul_f32_e32 v2, v2, v31
	v_fma_f32 v2, v30, v3, -v2
	v_cvt_f64_f32_e32 v[4:5], v4
	v_cvt_f64_f32_e32 v[2:3], v2
	v_mul_f64 v[4:5], v[4:5], s[4:5]
	v_mul_f64 v[2:3], v[2:3], s[4:5]
	v_mad_u64_u32 v[0:1], s[0:1], s0, 48, v[0:1]
	v_cvt_f32_f64_e32 v4, v[4:5]
	v_cvt_f32_f64_e32 v5, v[2:3]
	v_add_u32_e32 v1, s6, v1
	global_store_dwordx2 v[0:1], v[4:5], off
.LBB0_15:
	s_endpgm
	.section	.rodata,"a",@progbits
	.p2align	6, 0x0
	.amdhsa_kernel bluestein_single_back_len42_dim1_sp_op_CI_CI
		.amdhsa_group_segment_fixed_size 12096
		.amdhsa_private_segment_fixed_size 0
		.amdhsa_kernarg_size 104
		.amdhsa_user_sgpr_count 2
		.amdhsa_user_sgpr_dispatch_ptr 0
		.amdhsa_user_sgpr_queue_ptr 0
		.amdhsa_user_sgpr_kernarg_segment_ptr 1
		.amdhsa_user_sgpr_dispatch_id 0
		.amdhsa_user_sgpr_kernarg_preload_length 0
		.amdhsa_user_sgpr_kernarg_preload_offset 0
		.amdhsa_user_sgpr_private_segment_size 0
		.amdhsa_uses_dynamic_stack 0
		.amdhsa_enable_private_segment 0
		.amdhsa_system_sgpr_workgroup_id_x 1
		.amdhsa_system_sgpr_workgroup_id_y 0
		.amdhsa_system_sgpr_workgroup_id_z 0
		.amdhsa_system_sgpr_workgroup_info 0
		.amdhsa_system_vgpr_workitem_id 0
		.amdhsa_next_free_vgpr 65
		.amdhsa_next_free_sgpr 18
		.amdhsa_accum_offset 68
		.amdhsa_reserve_vcc 1
		.amdhsa_float_round_mode_32 0
		.amdhsa_float_round_mode_16_64 0
		.amdhsa_float_denorm_mode_32 3
		.amdhsa_float_denorm_mode_16_64 3
		.amdhsa_dx10_clamp 1
		.amdhsa_ieee_mode 1
		.amdhsa_fp16_overflow 0
		.amdhsa_tg_split 0
		.amdhsa_exception_fp_ieee_invalid_op 0
		.amdhsa_exception_fp_denorm_src 0
		.amdhsa_exception_fp_ieee_div_zero 0
		.amdhsa_exception_fp_ieee_overflow 0
		.amdhsa_exception_fp_ieee_underflow 0
		.amdhsa_exception_fp_ieee_inexact 0
		.amdhsa_exception_int_div_zero 0
	.end_amdhsa_kernel
	.text
.Lfunc_end0:
	.size	bluestein_single_back_len42_dim1_sp_op_CI_CI, .Lfunc_end0-bluestein_single_back_len42_dim1_sp_op_CI_CI
                                        ; -- End function
	.section	.AMDGPU.csdata,"",@progbits
; Kernel info:
; codeLenInByte = 4180
; NumSgprs: 24
; NumVgprs: 65
; NumAgprs: 0
; TotalNumVgprs: 65
; ScratchSize: 0
; MemoryBound: 0
; FloatMode: 240
; IeeeMode: 1
; LDSByteSize: 12096 bytes/workgroup (compile time only)
; SGPRBlocks: 2
; VGPRBlocks: 8
; NumSGPRsForWavesPerEU: 24
; NumVGPRsForWavesPerEU: 65
; AccumOffset: 68
; Occupancy: 7
; WaveLimiterHint : 1
; COMPUTE_PGM_RSRC2:SCRATCH_EN: 0
; COMPUTE_PGM_RSRC2:USER_SGPR: 2
; COMPUTE_PGM_RSRC2:TRAP_HANDLER: 0
; COMPUTE_PGM_RSRC2:TGID_X_EN: 1
; COMPUTE_PGM_RSRC2:TGID_Y_EN: 0
; COMPUTE_PGM_RSRC2:TGID_Z_EN: 0
; COMPUTE_PGM_RSRC2:TIDIG_COMP_CNT: 0
; COMPUTE_PGM_RSRC3_GFX90A:ACCUM_OFFSET: 16
; COMPUTE_PGM_RSRC3_GFX90A:TG_SPLIT: 0
	.text
	.p2alignl 6, 3212836864
	.fill 256, 4, 3212836864
	.type	__hip_cuid_585a87437cf2f7bf,@object ; @__hip_cuid_585a87437cf2f7bf
	.section	.bss,"aw",@nobits
	.globl	__hip_cuid_585a87437cf2f7bf
__hip_cuid_585a87437cf2f7bf:
	.byte	0                               ; 0x0
	.size	__hip_cuid_585a87437cf2f7bf, 1

	.ident	"AMD clang version 19.0.0git (https://github.com/RadeonOpenCompute/llvm-project roc-6.4.0 25133 c7fe45cf4b819c5991fe208aaa96edf142730f1d)"
	.section	".note.GNU-stack","",@progbits
	.addrsig
	.addrsig_sym __hip_cuid_585a87437cf2f7bf
	.amdgpu_metadata
---
amdhsa.kernels:
  - .agpr_count:     0
    .args:
      - .actual_access:  read_only
        .address_space:  global
        .offset:         0
        .size:           8
        .value_kind:     global_buffer
      - .actual_access:  read_only
        .address_space:  global
        .offset:         8
        .size:           8
        .value_kind:     global_buffer
      - .actual_access:  read_only
        .address_space:  global
        .offset:         16
        .size:           8
        .value_kind:     global_buffer
      - .actual_access:  read_only
        .address_space:  global
        .offset:         24
        .size:           8
        .value_kind:     global_buffer
      - .actual_access:  read_only
        .address_space:  global
        .offset:         32
        .size:           8
        .value_kind:     global_buffer
      - .offset:         40
        .size:           8
        .value_kind:     by_value
      - .address_space:  global
        .offset:         48
        .size:           8
        .value_kind:     global_buffer
      - .address_space:  global
        .offset:         56
        .size:           8
        .value_kind:     global_buffer
      - .address_space:  global
        .offset:         64
        .size:           8
        .value_kind:     global_buffer
      - .address_space:  global
        .offset:         72
        .size:           8
        .value_kind:     global_buffer
      - .offset:         80
        .size:           4
        .value_kind:     by_value
      - .address_space:  global
        .offset:         88
        .size:           8
        .value_kind:     global_buffer
      - .address_space:  global
        .offset:         96
        .size:           8
        .value_kind:     global_buffer
    .group_segment_fixed_size: 12096
    .kernarg_segment_align: 8
    .kernarg_segment_size: 104
    .language:       OpenCL C
    .language_version:
      - 2
      - 0
    .max_flat_workgroup_size: 252
    .name:           bluestein_single_back_len42_dim1_sp_op_CI_CI
    .private_segment_fixed_size: 0
    .sgpr_count:     24
    .sgpr_spill_count: 0
    .symbol:         bluestein_single_back_len42_dim1_sp_op_CI_CI.kd
    .uniform_work_group_size: 1
    .uses_dynamic_stack: false
    .vgpr_count:     65
    .vgpr_spill_count: 0
    .wavefront_size: 64
amdhsa.target:   amdgcn-amd-amdhsa--gfx950
amdhsa.version:
  - 1
  - 2
...

	.end_amdgpu_metadata
